;; amdgpu-corpus repo=ROCm/rocFFT kind=compiled arch=gfx950 opt=O3
	.text
	.amdgcn_target "amdgcn-amd-amdhsa--gfx950"
	.amdhsa_code_object_version 6
	.protected	fft_rtc_back_len200_factors_8_5_5_wgs_400_tpt_40_sp_op_CI_CI_sbcr_dirReg ; -- Begin function fft_rtc_back_len200_factors_8_5_5_wgs_400_tpt_40_sp_op_CI_CI_sbcr_dirReg
	.globl	fft_rtc_back_len200_factors_8_5_5_wgs_400_tpt_40_sp_op_CI_CI_sbcr_dirReg
	.p2align	8
	.type	fft_rtc_back_len200_factors_8_5_5_wgs_400_tpt_40_sp_op_CI_CI_sbcr_dirReg,@function
fft_rtc_back_len200_factors_8_5_5_wgs_400_tpt_40_sp_op_CI_CI_sbcr_dirReg: ; @fft_rtc_back_len200_factors_8_5_5_wgs_400_tpt_40_sp_op_CI_CI_sbcr_dirReg
; %bb.0:
	s_load_dwordx4 s[4:7], s[0:1], 0x10
	s_load_dwordx2 s[30:31], s[0:1], 0x20
	s_mov_b32 s3, 0
	s_mov_b64 s[28:29], 0
	s_waitcnt lgkmcnt(0)
	s_load_dwordx2 s[24:25], s[4:5], 0x8
	s_waitcnt lgkmcnt(0)
	s_add_u32 s8, s24, -1
	s_addc_u32 s9, s25, -1
	s_add_u32 s10, 0, 0x99986000
	s_addc_u32 s11, 0, 0x59
	s_mul_hi_u32 s13, s10, -10
	s_add_i32 s11, s11, 0x19999940
	s_sub_i32 s13, s13, s10
	s_mul_i32 s16, s11, -10
	s_mul_i32 s12, s10, -10
	s_add_i32 s13, s13, s16
	s_mul_hi_u32 s14, s11, s12
	s_mul_i32 s15, s11, s12
	s_mul_i32 s17, s10, s13
	s_mul_hi_u32 s12, s10, s12
	s_mul_hi_u32 s16, s10, s13
	s_add_u32 s12, s12, s17
	s_addc_u32 s16, 0, s16
	s_add_u32 s12, s12, s15
	s_mul_hi_u32 s17, s11, s13
	s_addc_u32 s12, s16, s14
	s_addc_u32 s14, s17, 0
	s_mul_i32 s13, s11, s13
	s_add_u32 s12, s12, s13
	v_mov_b32_e32 v1, s12
	s_addc_u32 s13, 0, s14
	v_add_co_u32_e32 v1, vcc, s10, v1
	s_cmp_lg_u64 vcc, 0
	s_addc_u32 s10, s11, s13
	v_readfirstlane_b32 s13, v1
	s_mul_i32 s12, s8, s10
	s_mul_hi_u32 s14, s8, s13
	s_mul_hi_u32 s11, s8, s10
	s_add_u32 s12, s14, s12
	s_addc_u32 s11, 0, s11
	s_mul_hi_u32 s15, s9, s13
	s_mul_i32 s13, s9, s13
	s_add_u32 s12, s12, s13
	s_mul_hi_u32 s14, s9, s10
	s_addc_u32 s11, s11, s15
	s_addc_u32 s12, s14, 0
	s_mul_i32 s10, s9, s10
	s_add_u32 s10, s11, s10
	s_addc_u32 s11, 0, s12
	s_add_u32 s12, s10, 1
	s_addc_u32 s13, s11, 0
	s_add_u32 s14, s10, 2
	s_mul_i32 s16, s11, 10
	s_mul_hi_u32 s17, s10, 10
	s_addc_u32 s15, s11, 0
	s_add_i32 s17, s17, s16
	s_mul_i32 s16, s10, 10
	v_mov_b32_e32 v1, s16
	v_sub_co_u32_e32 v1, vcc, s8, v1
	s_cmp_lg_u64 vcc, 0
	s_subb_u32 s8, s9, s17
	v_subrev_co_u32_e32 v2, vcc, 10, v1
	s_cmp_lg_u64 vcc, 0
	s_subb_u32 s9, s8, 0
	v_readfirstlane_b32 s16, v2
	s_cmp_gt_u32 s16, 9
	s_cselect_b32 s16, -1, 0
	s_cmp_eq_u32 s9, 0
	s_cselect_b32 s9, s16, -1
	s_cmp_lg_u32 s9, 0
	s_cselect_b32 s9, s14, s12
	s_cselect_b32 s12, s15, s13
	v_readfirstlane_b32 s13, v1
	s_cmp_gt_u32 s13, 9
	s_cselect_b32 s13, -1, 0
	s_cmp_eq_u32 s8, 0
	s_cselect_b32 s8, s13, -1
	s_cmp_lg_u32 s8, 0
	s_cselect_b32 s9, s9, s10
	s_cselect_b32 s8, s12, s11
	s_add_u32 s34, s9, 1
	s_addc_u32 s35, s8, 0
	v_mov_b64_e32 v[2:3], s[34:35]
	v_cmp_lt_u64_e32 vcc, s[2:3], v[2:3]
	s_cbranch_vccnz .LBB0_2
; %bb.1:
	v_cvt_f32_u32_e32 v1, s34
	s_sub_i32 s8, 0, s34
	s_mov_b32 s29, s3
	v_rcp_iflag_f32_e32 v1, v1
	s_nop 0
	v_mul_f32_e32 v1, 0x4f7ffffe, v1
	v_cvt_u32_f32_e32 v1, v1
	s_nop 0
	v_readfirstlane_b32 s9, v1
	s_mul_i32 s8, s8, s9
	s_mul_hi_u32 s8, s9, s8
	s_add_i32 s9, s9, s8
	s_mul_hi_u32 s8, s2, s9
	s_mul_i32 s10, s8, s34
	s_sub_i32 s10, s2, s10
	s_add_i32 s9, s8, 1
	s_sub_i32 s11, s10, s34
	s_cmp_ge_u32 s10, s34
	s_cselect_b32 s8, s9, s8
	s_cselect_b32 s10, s11, s10
	s_add_i32 s9, s8, 1
	s_cmp_ge_u32 s10, s34
	s_cselect_b32 s28, s9, s8
.LBB0_2:
	s_load_dwordx4 s[12:15], s[0:1], 0x58
	s_load_dwordx4 s[16:19], s[0:1], 0x0
	;; [unrolled: 1-line block ×4, first 2 shown]
	s_mul_i32 s0, s28, s35
	s_mul_hi_u32 s1, s28, s34
	s_add_i32 s1, s1, s0
	s_mul_i32 s0, s28, s34
	s_sub_u32 s0, s2, s0
	s_subb_u32 s1, 0, s1
	s_mul_i32 s1, s1, 10
	s_mul_hi_u32 s26, s0, 10
	s_add_i32 s27, s26, s1
	s_mul_i32 s26, s0, 10
	s_waitcnt lgkmcnt(0)
	s_mul_i32 s0, s22, s27
	s_mul_hi_u32 s1, s22, s26
	s_add_i32 s0, s1, s0
	s_mul_i32 s1, s23, s26
	s_add_i32 s49, s0, s1
	s_mul_i32 s0, s10, s27
	s_mul_hi_u32 s1, s10, s26
	s_add_i32 s0, s1, s0
	s_mul_i32 s1, s11, s26
	s_add_i32 s33, s0, s1
	v_cmp_lt_u64_e64 s[0:1], s[18:19], 3
	s_mul_i32 s50, s22, s26
	s_mul_i32 s48, s10, s26
	s_and_b64 vcc, exec, s[0:1]
	s_cbranch_vccnz .LBB0_12
; %bb.3:
	s_add_u32 s36, s30, 16
	s_addc_u32 s37, s31, 0
	s_add_u32 s38, s6, 16
	s_addc_u32 s39, s7, 0
	;; [unrolled: 2-line block ×3, first 2 shown]
	s_mov_b64 s[40:41], 2
	s_mov_b32 s42, 0
	v_mov_b64_e32 v[2:3], s[18:19]
.LBB0_4:                                ; =>This Inner Loop Header: Depth=1
	s_load_dwordx2 s[44:45], s[4:5], 0x0
	s_waitcnt lgkmcnt(0)
	s_or_b64 s[0:1], s[28:29], s[44:45]
	s_mov_b32 s43, s1
	s_cmp_lg_u64 s[42:43], 0
	s_cbranch_scc0 .LBB0_9
; %bb.5:                                ;   in Loop: Header=BB0_4 Depth=1
	v_cvt_f32_u32_e32 v1, s44
	v_cvt_f32_u32_e32 v4, s45
	s_sub_u32 s0, 0, s44
	s_subb_u32 s1, 0, s45
	v_fmac_f32_e32 v1, 0x4f800000, v4
	v_rcp_f32_e32 v1, v1
	s_nop 0
	v_mul_f32_e32 v1, 0x5f7ffffc, v1
	v_mul_f32_e32 v4, 0x2f800000, v1
	v_trunc_f32_e32 v4, v4
	v_fmac_f32_e32 v1, 0xcf800000, v4
	v_cvt_u32_f32_e32 v4, v4
	v_cvt_u32_f32_e32 v1, v1
	v_readfirstlane_b32 s43, v4
	v_readfirstlane_b32 s46, v1
	s_mul_i32 s47, s0, s43
	s_mul_hi_u32 s52, s0, s46
	s_mul_i32 s51, s1, s46
	s_add_i32 s47, s52, s47
	s_mul_i32 s53, s0, s46
	s_add_i32 s47, s47, s51
	s_mul_hi_u32 s51, s46, s47
	s_mul_i32 s52, s46, s47
	s_mul_hi_u32 s46, s46, s53
	s_add_u32 s46, s46, s52
	s_addc_u32 s51, 0, s51
	s_mul_hi_u32 s54, s43, s53
	s_mul_i32 s53, s43, s53
	s_add_u32 s46, s46, s53
	s_mul_hi_u32 s52, s43, s47
	s_addc_u32 s46, s51, s54
	s_addc_u32 s51, s52, 0
	s_mul_i32 s47, s43, s47
	s_add_u32 s46, s46, s47
	s_addc_u32 s47, 0, s51
	v_add_co_u32_e32 v1, vcc, s46, v1
	s_cmp_lg_u64 vcc, 0
	s_addc_u32 s43, s43, s47
	v_readfirstlane_b32 s47, v1
	s_mul_i32 s46, s0, s43
	s_mul_hi_u32 s51, s0, s47
	s_add_i32 s46, s51, s46
	s_mul_i32 s1, s1, s47
	s_add_i32 s46, s46, s1
	s_mul_i32 s0, s0, s47
	s_mul_hi_u32 s51, s43, s0
	s_mul_i32 s52, s43, s0
	s_mul_i32 s54, s47, s46
	s_mul_hi_u32 s0, s47, s0
	s_mul_hi_u32 s53, s47, s46
	s_add_u32 s0, s0, s54
	s_addc_u32 s47, 0, s53
	s_add_u32 s0, s0, s52
	s_mul_hi_u32 s1, s43, s46
	s_addc_u32 s0, s47, s51
	s_addc_u32 s1, s1, 0
	s_mul_i32 s46, s43, s46
	s_add_u32 s0, s0, s46
	s_addc_u32 s1, 0, s1
	v_add_co_u32_e32 v1, vcc, s0, v1
	s_cmp_lg_u64 vcc, 0
	s_addc_u32 s0, s43, s1
	v_readfirstlane_b32 s46, v1
	s_mul_i32 s43, s28, s0
	s_mul_hi_u32 s47, s28, s46
	s_mul_hi_u32 s1, s28, s0
	s_add_u32 s43, s47, s43
	s_addc_u32 s1, 0, s1
	s_mul_hi_u32 s51, s29, s46
	s_mul_i32 s46, s29, s46
	s_add_u32 s43, s43, s46
	s_mul_hi_u32 s47, s29, s0
	s_addc_u32 s1, s1, s51
	s_addc_u32 s43, s47, 0
	s_mul_i32 s0, s29, s0
	s_add_u32 s46, s1, s0
	s_addc_u32 s43, 0, s43
	s_mul_i32 s0, s44, s43
	s_mul_hi_u32 s1, s44, s46
	s_add_i32 s0, s1, s0
	s_mul_i32 s1, s45, s46
	s_add_i32 s47, s0, s1
	s_mul_i32 s1, s44, s46
	v_mov_b32_e32 v1, s1
	s_sub_i32 s0, s29, s47
	v_sub_co_u32_e32 v1, vcc, s28, v1
	s_cmp_lg_u64 vcc, 0
	s_subb_u32 s51, s0, s45
	v_subrev_co_u32_e64 v4, s[0:1], s44, v1
	s_cmp_lg_u64 s[0:1], 0
	s_subb_u32 s0, s51, 0
	s_cmp_ge_u32 s0, s45
	v_readfirstlane_b32 s51, v4
	s_cselect_b32 s1, -1, 0
	s_cmp_ge_u32 s51, s44
	s_cselect_b32 s51, -1, 0
	s_cmp_eq_u32 s0, s45
	s_cselect_b32 s0, s51, s1
	s_add_u32 s1, s46, 1
	s_addc_u32 s51, s43, 0
	s_add_u32 s52, s46, 2
	s_addc_u32 s53, s43, 0
	s_cmp_lg_u32 s0, 0
	s_cselect_b32 s0, s52, s1
	s_cselect_b32 s1, s53, s51
	s_cmp_lg_u64 vcc, 0
	s_subb_u32 s47, s29, s47
	s_cmp_ge_u32 s47, s45
	v_readfirstlane_b32 s52, v1
	s_cselect_b32 s51, -1, 0
	s_cmp_ge_u32 s52, s44
	s_cselect_b32 s52, -1, 0
	s_cmp_eq_u32 s47, s45
	s_cselect_b32 s47, s52, s51
	s_cmp_lg_u32 s47, 0
	s_cselect_b32 s1, s1, s43
	s_cselect_b32 s0, s0, s46
	s_cbranch_execnz .LBB0_7
.LBB0_6:                                ;   in Loop: Header=BB0_4 Depth=1
	v_cvt_f32_u32_e32 v1, s44
	s_sub_i32 s0, 0, s44
	v_rcp_iflag_f32_e32 v1, v1
	s_nop 0
	v_mul_f32_e32 v1, 0x4f7ffffe, v1
	v_cvt_u32_f32_e32 v1, v1
	s_nop 0
	v_readfirstlane_b32 s1, v1
	s_mul_i32 s0, s0, s1
	s_mul_hi_u32 s0, s1, s0
	s_add_i32 s1, s1, s0
	s_mul_hi_u32 s0, s28, s1
	s_mul_i32 s43, s0, s44
	s_sub_i32 s43, s28, s43
	s_add_i32 s1, s0, 1
	s_sub_i32 s46, s43, s44
	s_cmp_ge_u32 s43, s44
	s_cselect_b32 s0, s1, s0
	s_cselect_b32 s43, s46, s43
	s_add_i32 s1, s0, 1
	s_cmp_ge_u32 s43, s44
	s_cselect_b32 s0, s1, s0
	s_mov_b32 s1, s42
.LBB0_7:                                ;   in Loop: Header=BB0_4 Depth=1
	s_mul_i32 s35, s44, s35
	s_mul_hi_u32 s43, s44, s34
	s_add_i32 s35, s43, s35
	s_mul_i32 s43, s45, s34
	s_add_i32 s35, s35, s43
	s_mul_i32 s43, s0, s45
	s_mul_hi_u32 s45, s0, s44
	s_load_dwordx2 s[46:47], s[38:39], 0x0
	s_add_i32 s43, s45, s43
	s_mul_i32 s45, s1, s44
	s_mul_i32 s34, s44, s34
	s_add_i32 s43, s43, s45
	s_mul_i32 s44, s0, s44
	s_sub_u32 s44, s28, s44
	s_subb_u32 s43, s29, s43
	s_waitcnt lgkmcnt(0)
	s_mul_i32 s28, s46, s43
	s_mul_hi_u32 s29, s46, s44
	s_add_i32 s45, s29, s28
	s_load_dwordx2 s[28:29], s[36:37], 0x0
	s_mul_i32 s47, s47, s44
	s_add_i32 s45, s45, s47
	s_mul_i32 s46, s46, s44
	s_add_u32 s50, s46, s50
	s_addc_u32 s49, s45, s49
	s_waitcnt lgkmcnt(0)
	s_mul_i32 s43, s28, s43
	s_mul_hi_u32 s45, s28, s44
	s_add_i32 s43, s45, s43
	s_mul_i32 s29, s29, s44
	s_add_i32 s43, s43, s29
	s_mul_i32 s28, s28, s44
	s_add_u32 s48, s28, s48
	s_addc_u32 s33, s43, s33
	s_add_u32 s40, s40, 1
	s_addc_u32 s41, s41, 0
	;; [unrolled: 2-line block ×4, first 2 shown]
	s_add_u32 s4, s4, 8
	v_cmp_ge_u64_e32 vcc, s[40:41], v[2:3]
	s_addc_u32 s5, s5, 0
	s_cbranch_vccnz .LBB0_10
; %bb.8:                                ;   in Loop: Header=BB0_4 Depth=1
	s_mov_b64 s[28:29], s[0:1]
	s_branch .LBB0_4
.LBB0_9:                                ;   in Loop: Header=BB0_4 Depth=1
                                        ; implicit-def: $sgpr0_sgpr1
	s_branch .LBB0_6
.LBB0_10:
	v_mov_b64_e32 v[2:3], s[34:35]
	v_cmp_lt_u64_e32 vcc, s[2:3], v[2:3]
	s_mov_b64 s[28:29], 0
	s_cbranch_vccnz .LBB0_12
; %bb.11:
	v_cvt_f32_u32_e32 v1, s34
	s_sub_i32 s0, 0, s34
	v_rcp_iflag_f32_e32 v1, v1
	s_nop 0
	v_mul_f32_e32 v1, 0x4f7ffffe, v1
	v_cvt_u32_f32_e32 v1, v1
	s_nop 0
	v_readfirstlane_b32 s1, v1
	s_mul_i32 s0, s0, s1
	s_mul_hi_u32 s0, s1, s0
	s_add_i32 s1, s1, s0
	s_mul_hi_u32 s0, s2, s1
	s_mul_i32 s3, s0, s34
	s_sub_i32 s2, s2, s3
	s_add_i32 s1, s0, 1
	s_sub_i32 s3, s2, s34
	s_cmp_ge_u32 s2, s34
	s_cselect_b32 s0, s1, s0
	s_cselect_b32 s2, s3, s2
	s_add_i32 s1, s0, 1
	s_cmp_ge_u32 s2, s34
	s_cselect_b32 s28, s1, s0
.LBB0_12:
	s_lshl_b64 s[0:1], s[18:19], 3
	s_add_u32 s2, s6, s0
	s_addc_u32 s3, s7, s1
	s_load_dwordx2 s[2:3], s[2:3], 0x0
	v_mul_u32_u24_e32 v1, 0x199a, v0
	v_lshrrev_b32_e32 v1, 16, v1
	v_mov_b64_e32 v[4:5], s[24:25]
	v_mul_lo_u16_e32 v2, 10, v1
	s_waitcnt lgkmcnt(0)
	s_mul_i32 s3, s3, s28
	s_mul_hi_u32 s4, s2, s28
	s_mul_i32 s2, s2, s28
	s_add_i32 s4, s4, s3
	s_add_u32 s18, s2, s50
	s_addc_u32 s19, s4, s49
	s_add_u32 s6, s30, s0
	s_addc_u32 s7, s31, s1
	;; [unrolled: 2-line block ×3, first 2 shown]
	s_movk_i32 s4, 0xfa
	v_cmp_gt_u64_e32 vcc, s[0:1], v[4:5]
	v_cmp_le_u64_e64 s[0:1], s[0:1], v[4:5]
	s_movk_i32 s2, 0xf9
	v_cmp_gt_u32_e64 s[4:5], s4, v0
	v_sub_u16_e32 v2, v0, v2
	v_cmp_lt_u32_e64 s[2:3], s2, v0
	s_and_b64 s[30:31], s[4:5], s[0:1]
                                        ; implicit-def: $vgpr4_vgpr5
                                        ; implicit-def: $vgpr12_vgpr13
                                        ; implicit-def: $vgpr6_vgpr7
                                        ; implicit-def: $vgpr14_vgpr15
                                        ; implicit-def: $vgpr8_vgpr9
                                        ; implicit-def: $vgpr16_vgpr17
                                        ; implicit-def: $vgpr10_vgpr11
                                        ; implicit-def: $vgpr18_vgpr19
	s_and_saveexec_b64 s[0:1], s[30:31]
	s_cbranch_execz .LBB0_14
; %bb.13:
	v_mad_u64_u32 v[4:5], s[30:31], s22, v2, 0
	v_mov_b32_e32 v6, v5
	v_mad_u64_u32 v[6:7], s[30:31], s23, v2, v[6:7]
	v_mov_b32_e32 v5, v6
	;; [unrolled: 2-line block ×3, first 2 shown]
	v_mad_u64_u32 v[8:9], s[30:31], s21, v1, v[8:9]
	s_lshl_b64 s[30:31], s[18:19], 3
	s_add_u32 s30, s12, s30
	s_addc_u32 s31, s13, s31
	v_mov_b32_e32 v7, v8
	v_lshl_add_u64 v[4:5], v[4:5], 3, s[30:31]
	v_add_u32_e32 v3, 25, v1
	v_lshl_add_u64 v[20:21], v[6:7], 3, v[4:5]
	v_mad_u64_u32 v[6:7], s[30:31], s20, v3, 0
	v_mov_b32_e32 v8, v7
	v_mad_u64_u32 v[8:9], s[30:31], s21, v3, v[8:9]
	v_mov_b32_e32 v7, v8
	v_add_u32_e32 v3, 50, v1
	v_lshl_add_u64 v[22:23], v[6:7], 3, v[4:5]
	v_mad_u64_u32 v[6:7], s[30:31], s20, v3, 0
	v_mov_b32_e32 v8, v7
	v_mad_u64_u32 v[8:9], s[30:31], s21, v3, v[8:9]
	v_mov_b32_e32 v7, v8
	;; [unrolled: 6-line block ×7, first 2 shown]
	v_lshl_add_u64 v[34:35], v[6:7], 3, v[4:5]
	global_load_dwordx2 v[4:5], v[20:21], off
	global_load_dwordx2 v[8:9], v[22:23], off
	;; [unrolled: 1-line block ×8, first 2 shown]
.LBB0_14:
	s_or_b64 exec, exec, s[0:1]
	s_load_dwordx2 s[6:7], s[6:7], 0x0
	v_cndmask_b32_e64 v3, 0, 1, vcc
	v_cmp_ne_u32_e64 s[0:1], 1, v3
	s_andn2_b64 vcc, exec, vcc
	s_cbranch_vccz .LBB0_21
; %bb.15:
                                        ; implicit-def: $vgpr20
	s_and_saveexec_b64 s[4:5], s[2:3]
	s_xor_b64 s[2:3], exec, s[4:5]
	s_cbranch_execnz .LBB0_24
.LBB0_16:
	s_or_saveexec_b64 s[2:3], s[2:3]
	v_lshlrev_b32_e32 v3, 3, v2
	s_xor_b64 exec, exec, s[2:3]
	s_cbranch_execz .LBB0_18
.LBB0_17:
	s_waitcnt vmcnt(3)
	v_pk_add_f32 v[12:13], v[4:5], v[12:13] neg_lo:[0,1] neg_hi:[0,1]
	s_waitcnt vmcnt(1)
	v_pk_add_f32 v[14:15], v[6:7], v[14:15] neg_lo:[0,1] neg_hi:[0,1]
	v_pk_add_f32 v[16:17], v[8:9], v[16:17] neg_lo:[0,1] neg_hi:[0,1]
	s_waitcnt vmcnt(0)
	v_pk_add_f32 v[18:19], v[10:11], v[18:19] neg_lo:[0,1] neg_hi:[0,1]
	v_pk_fma_f32 v[6:7], v[6:7], 2.0, v[14:15] op_sel_hi:[1,0,1] neg_lo:[0,0,1] neg_hi:[0,0,1]
	v_pk_add_f32 v[22:23], v[12:13], v[14:15] op_sel:[0,1] op_sel_hi:[1,0]
	v_pk_add_f32 v[14:15], v[12:13], v[14:15] op_sel:[0,1] op_sel_hi:[1,0] neg_lo:[0,1] neg_hi:[0,1]
	v_pk_fma_f32 v[10:11], v[10:11], 2.0, v[18:19] op_sel_hi:[1,0,1] neg_lo:[0,0,1] neg_hi:[0,0,1]
	v_mov_b32_e32 v23, v15
	v_pk_add_f32 v[14:15], v[16:17], v[18:19] op_sel:[0,1] op_sel_hi:[1,0]
	v_pk_add_f32 v[18:19], v[16:17], v[18:19] op_sel:[0,1] op_sel_hi:[1,0] neg_lo:[0,1] neg_hi:[0,1]
	v_pk_fma_f32 v[4:5], v[4:5], 2.0, v[12:13] op_sel_hi:[1,0,1] neg_lo:[0,0,1] neg_hi:[0,0,1]
	v_mov_b32_e32 v15, v19
	v_pk_fma_f32 v[8:9], v[8:9], 2.0, v[16:17] op_sel_hi:[1,0,1] neg_lo:[0,0,1] neg_hi:[0,0,1]
	v_pk_fma_f32 v[16:17], v[16:17], 2.0, v[14:15] op_sel_hi:[1,0,1] neg_lo:[0,0,1] neg_hi:[0,0,1]
	s_mov_b32 s4, 0x3f3504f3
	v_pk_fma_f32 v[12:13], v[12:13], 2.0, v[22:23] op_sel_hi:[1,0,1] neg_lo:[0,0,1] neg_hi:[0,0,1]
	v_pk_add_f32 v[6:7], v[4:5], v[6:7] neg_lo:[0,1] neg_hi:[0,1]
	v_pk_add_f32 v[10:11], v[8:9], v[10:11] neg_lo:[0,1] neg_hi:[0,1]
	v_pk_mul_f32 v[18:19], v[16:17], s[4:5] op_sel_hi:[1,0]
	v_pk_fma_f32 v[16:17], v[16:17], s[4:5], v[12:13] op_sel_hi:[1,0,1] neg_lo:[1,0,0] neg_hi:[1,0,0]
	v_mul_u32_u24_e32 v20, 0x50, v1
	v_pk_fma_f32 v[4:5], v[4:5], 2.0, v[6:7] op_sel_hi:[1,0,1] neg_lo:[0,0,1] neg_hi:[0,0,1]
	v_pk_fma_f32 v[8:9], v[8:9], 2.0, v[10:11] op_sel_hi:[1,0,1] neg_lo:[0,0,1] neg_hi:[0,0,1]
	v_pk_add_f32 v[24:25], v[16:17], v[18:19] op_sel:[0,1] op_sel_hi:[1,0]
	v_pk_add_f32 v[16:17], v[16:17], v[18:19] op_sel:[0,1] op_sel_hi:[1,0] neg_lo:[0,1] neg_hi:[0,1]
	v_lshlrev_b32_e32 v2, 3, v20
	v_pk_add_f32 v[8:9], v[4:5], v[8:9] neg_lo:[0,1] neg_hi:[0,1]
	v_mov_b32_e32 v25, v17
	v_add3_u32 v2, 0, v2, v3
	v_pk_fma_f32 v[4:5], v[4:5], 2.0, v[8:9] op_sel_hi:[1,0,1] neg_lo:[0,0,1] neg_hi:[0,0,1]
	v_pk_fma_f32 v[12:13], v[12:13], 2.0, v[24:25] op_sel_hi:[1,0,1] neg_lo:[0,0,1] neg_hi:[0,0,1]
	ds_write2_b64 v2, v[4:5], v[12:13] offset1:10
	v_pk_add_f32 v[4:5], v[6:7], v[10:11] op_sel:[0,1] op_sel_hi:[1,0]
	v_pk_add_f32 v[10:11], v[6:7], v[10:11] op_sel:[0,1] op_sel_hi:[1,0] neg_lo:[0,1] neg_hi:[0,1]
	v_pk_fma_f32 v[12:13], v[14:15], s[4:5], v[22:23] op_sel_hi:[1,0,1]
	v_mov_b32_e32 v5, v11
	v_pk_mul_f32 v[10:11], v[14:15], s[4:5] op_sel_hi:[1,0]
	v_pk_fma_f32 v[6:7], v[6:7], 2.0, v[4:5] op_sel_hi:[1,0,1] neg_lo:[0,0,1] neg_hi:[0,0,1]
	v_pk_add_f32 v[14:15], v[12:13], v[10:11] op_sel:[0,1] op_sel_hi:[1,0]
	v_pk_add_f32 v[10:11], v[12:13], v[10:11] op_sel:[0,1] op_sel_hi:[1,0] neg_lo:[0,1] neg_hi:[0,1]
	s_nop 0
	v_mov_b32_e32 v15, v11
	v_pk_fma_f32 v[10:11], v[22:23], 2.0, v[14:15] op_sel_hi:[1,0,1] neg_lo:[0,0,1] neg_hi:[0,0,1]
	ds_write2_b64 v2, v[6:7], v[10:11] offset0:20 offset1:30
	ds_write2_b64 v2, v[8:9], v[24:25] offset0:40 offset1:50
	;; [unrolled: 1-line block ×3, first 2 shown]
.LBB0_18:
	s_or_b64 exec, exec, s[2:3]
	v_and_b32_e32 v2, 7, v1
	s_waitcnt vmcnt(3)
	v_lshlrev_b32_e32 v12, 5, v2
	s_waitcnt lgkmcnt(0)
	s_barrier
	global_load_dwordx4 v[4:7], v12, s[16:17]
	global_load_dwordx4 v[8:11], v12, s[16:17] offset:16
	v_add3_u32 v32, 0, v20, v3
	v_lshrrev_b32_e32 v22, 3, v1
	v_mul_lo_u16_e32 v23, 13, v1
	ds_read2_b32 v[12:13], v32 offset1:1
	s_waitcnt vmcnt(3)
	ds_read_b64 v[14:15], v32 offset:3200
	ds_read_b64 v[16:17], v32 offset:6400
	s_waitcnt vmcnt(2)
	ds_read_b64 v[18:19], v32 offset:9600
	ds_read_b64 v[20:21], v32 offset:12800
	v_mul_u32_u24_e32 v22, 40, v22
	v_lshrrev_b16_e32 v33, 9, v23
	v_or_b32_e32 v2, v22, v2
	v_mul_lo_u16_e32 v22, 40, v33
	v_sub_u16_e32 v22, v1, v22
	v_lshlrev_b16_e32 v22, 2, v22
	v_and_b32_e32 v22, 0xfc, v22
	v_lshlrev_b32_e32 v34, 3, v22
	s_mov_b32 s4, 0x3f737871
	s_mov_b32 s12, 0x3f167918
	;; [unrolled: 1-line block ×3, first 2 shown]
	v_mul_u32_u24_e32 v2, 0x50, v2
	v_add3_u32 v2, 0, v2, v3
	s_waitcnt lgkmcnt(0)
	s_barrier
	s_waitcnt vmcnt(1)
	v_pk_mul_f32 v[22:23], v[4:5], v[14:15] op_sel:[0,1]
	v_pk_mul_f32 v[24:25], v[6:7], v[16:17] op_sel:[0,1]
	s_waitcnt vmcnt(0)
	v_pk_mul_f32 v[26:27], v[8:9], v[18:19] op_sel:[0,1]
	v_pk_mul_f32 v[28:29], v[10:11], v[20:21] op_sel:[0,1]
	v_pk_fma_f32 v[30:31], v[4:5], v[14:15], v[22:23] op_sel:[0,0,1] op_sel_hi:[1,1,0]
	v_pk_fma_f32 v[4:5], v[4:5], v[14:15], v[22:23] op_sel:[0,0,1] op_sel_hi:[1,0,0] neg_lo:[1,0,0] neg_hi:[1,0,0]
	v_pk_fma_f32 v[14:15], v[6:7], v[16:17], v[24:25] op_sel:[0,0,1] op_sel_hi:[1,1,0]
	v_pk_fma_f32 v[6:7], v[6:7], v[16:17], v[24:25] op_sel:[0,0,1] op_sel_hi:[1,0,0] neg_lo:[1,0,0] neg_hi:[1,0,0]
	v_pk_fma_f32 v[16:17], v[8:9], v[18:19], v[26:27] op_sel:[0,0,1] op_sel_hi:[1,1,0]
	v_pk_fma_f32 v[8:9], v[8:9], v[18:19], v[26:27] op_sel:[0,0,1] op_sel_hi:[1,0,0] neg_lo:[1,0,0] neg_hi:[1,0,0]
	v_pk_fma_f32 v[18:19], v[10:11], v[20:21], v[28:29] op_sel:[0,0,1] op_sel_hi:[1,1,0]
	v_pk_fma_f32 v[10:11], v[10:11], v[20:21], v[28:29] op_sel:[0,0,1] op_sel_hi:[1,0,0] neg_lo:[1,0,0] neg_hi:[1,0,0]
	v_mov_b32_e32 v31, v5
	v_mov_b32_e32 v15, v7
	;; [unrolled: 1-line block ×4, first 2 shown]
	v_pk_add_f32 v[4:5], v[30:31], v[12:13]
	v_pk_add_f32 v[6:7], v[14:15], v[16:17]
	v_pk_add_f32 v[8:9], v[30:31], v[18:19] neg_lo:[0,1] neg_hi:[0,1]
	v_pk_add_f32 v[10:11], v[14:15], v[16:17] neg_lo:[0,1] neg_hi:[0,1]
	v_pk_add_f32 v[24:25], v[30:31], v[18:19]
	v_pk_add_f32 v[20:21], v[30:31], v[14:15] neg_lo:[0,1] neg_hi:[0,1]
	v_pk_add_f32 v[26:27], v[14:15], v[30:31] neg_lo:[0,1] neg_hi:[0,1]
	v_pk_add_f32 v[4:5], v[4:5], v[14:15]
	v_pk_fma_f32 v[6:7], v[6:7], 0.5, v[12:13] op_sel_hi:[1,0,1] neg_lo:[1,0,0] neg_hi:[1,0,0]
	v_pk_mul_f32 v[14:15], v[8:9], s[4:5] op_sel_hi:[1,0]
	v_pk_mul_f32 v[30:31], v[10:11], s[12:13] op_sel_hi:[1,0]
	v_pk_fma_f32 v[12:13], v[24:25], 0.5, v[12:13] op_sel_hi:[1,0,1] neg_lo:[1,0,0] neg_hi:[1,0,0]
	v_pk_mul_f32 v[10:11], v[10:11], s[4:5] op_sel_hi:[1,0]
	v_pk_add_f32 v[22:23], v[18:19], v[16:17] neg_lo:[0,1] neg_hi:[0,1]
	v_pk_add_f32 v[28:29], v[16:17], v[18:19] neg_lo:[0,1] neg_hi:[0,1]
	v_pk_mul_f32 v[8:9], v[8:9], s[12:13] op_sel_hi:[1,0]
	v_pk_add_f32 v[4:5], v[4:5], v[16:17]
	v_pk_add_f32 v[16:17], v[6:7], v[14:15] op_sel:[0,1] op_sel_hi:[1,0] neg_lo:[0,1] neg_hi:[0,1]
	v_pk_add_f32 v[6:7], v[6:7], v[14:15] op_sel:[0,1] op_sel_hi:[1,0]
	v_pk_add_f32 v[14:15], v[12:13], v[10:11] op_sel:[0,1] op_sel_hi:[1,0]
	v_pk_add_f32 v[10:11], v[12:13], v[10:11] op_sel:[0,1] op_sel_hi:[1,0] neg_lo:[0,1] neg_hi:[0,1]
	v_pk_add_f32 v[6:7], v[6:7], v[30:31] op_sel:[0,1] op_sel_hi:[1,0]
	v_pk_add_f32 v[12:13], v[16:17], v[30:31] op_sel:[0,1] op_sel_hi:[1,0] neg_lo:[0,1] neg_hi:[0,1]
	;; [unrolled: 2-line block ×3, first 2 shown]
	v_pk_add_f32 v[20:21], v[20:21], v[22:23]
	v_pk_add_f32 v[22:23], v[26:27], v[28:29]
	v_mov_b32_e32 v14, v12
	v_mov_b32_e32 v15, v7
	;; [unrolled: 1-line block ×5, first 2 shown]
	v_pk_add_f32 v[4:5], v[4:5], v[18:19]
	v_mov_b32_e32 v7, v13
	v_pk_fma_f32 v[8:9], v[20:21], s[2:3], v[14:15] op_sel_hi:[1,0,1]
	v_pk_fma_f32 v[12:13], v[22:23], s[2:3], v[16:17] op_sel_hi:[1,0,1]
	;; [unrolled: 1-line block ×4, first 2 shown]
	ds_write2_b64 v2, v[4:5], v[8:9] offset1:80
	ds_write2_b64 v2, v[12:13], v[10:11] offset0:160 offset1:240
	ds_write_b64 v2, v[6:7] offset:2560
	s_waitcnt lgkmcnt(0)
	s_barrier
	global_load_dwordx4 v[8:11], v34, s[16:17] offset:256
	global_load_dwordx4 v[12:15], v34, s[16:17] offset:272
	s_movk_i32 s13, 0x148
	s_mul_i32 s3, s7, s28
	s_movk_i32 s7, 0xa0
	v_mul_u32_u24_sdwa v2, v0, s13 dst_sel:DWORD dst_unused:UNUSED_PAD src0_sel:WORD_0 src1_sel:DWORD
	v_mad_u32_u24 v1, v33, s7, v1
	v_lshrrev_b32_e32 v2, 16, v2
	v_mul_u32_u24_e32 v1, 0x50, v1
	v_mul_lo_u16_e32 v4, 0xc8, v2
	v_add3_u32 v3, 0, v1, v3
	v_sub_u16_e32 v6, v0, v4
	ds_read2_b32 v[0:1], v32 offset1:1
	ds_read_b64 v[4:5], v32 offset:3200
	ds_read_b64 v[16:17], v32 offset:6400
	;; [unrolled: 1-line block ×4, first 2 shown]
	s_mul_hi_u32 s5, s6, s28
	s_add_i32 s5, s5, s3
	s_mul_i32 s6, s6, s28
	s_add_u32 s6, s6, s48
	s_waitcnt lgkmcnt(0)
	s_barrier
	s_addc_u32 s7, s5, s33
	s_and_b64 vcc, exec, s[0:1]
	s_mov_b64 s[0:1], -1
	s_waitcnt vmcnt(1)
	v_pk_mul_f32 v[22:23], v[8:9], v[4:5] op_sel:[0,1]
	v_pk_mul_f32 v[24:25], v[10:11], v[16:17] op_sel:[0,1]
	s_waitcnt vmcnt(0)
	v_pk_mul_f32 v[26:27], v[12:13], v[18:19] op_sel:[0,1]
	v_pk_mul_f32 v[28:29], v[14:15], v[20:21] op_sel:[0,1]
	v_pk_fma_f32 v[30:31], v[8:9], v[4:5], v[22:23] op_sel:[0,0,1] op_sel_hi:[1,1,0]
	v_pk_fma_f32 v[4:5], v[8:9], v[4:5], v[22:23] op_sel:[0,0,1] op_sel_hi:[1,0,0] neg_lo:[1,0,0] neg_hi:[1,0,0]
	v_pk_fma_f32 v[8:9], v[10:11], v[16:17], v[24:25] op_sel:[0,0,1] op_sel_hi:[1,1,0]
	v_pk_fma_f32 v[10:11], v[10:11], v[16:17], v[24:25] op_sel:[0,0,1] op_sel_hi:[1,0,0] neg_lo:[1,0,0] neg_hi:[1,0,0]
	;; [unrolled: 2-line block ×4, first 2 shown]
	v_mov_b32_e32 v31, v5
	v_mov_b32_e32 v9, v11
	;; [unrolled: 1-line block ×4, first 2 shown]
	v_pk_add_f32 v[4:5], v[30:31], v[0:1]
	v_pk_add_f32 v[10:11], v[8:9], v[16:17]
	v_pk_add_f32 v[12:13], v[30:31], v[18:19] neg_lo:[0,1] neg_hi:[0,1]
	v_pk_add_f32 v[14:15], v[8:9], v[16:17] neg_lo:[0,1] neg_hi:[0,1]
	;; [unrolled: 1-line block ×3, first 2 shown]
	v_pk_add_f32 v[24:25], v[30:31], v[18:19]
	v_pk_add_f32 v[26:27], v[8:9], v[30:31] neg_lo:[0,1] neg_hi:[0,1]
	v_pk_add_f32 v[4:5], v[4:5], v[8:9]
	v_pk_fma_f32 v[8:9], v[10:11], 0.5, v[0:1] op_sel_hi:[1,0,1] neg_lo:[1,0,0] neg_hi:[1,0,0]
	v_pk_mul_f32 v[10:11], v[12:13], s[4:5] op_sel_hi:[1,0]
	v_pk_add_f32 v[22:23], v[18:19], v[16:17] neg_lo:[0,1] neg_hi:[0,1]
	v_pk_add_f32 v[28:29], v[16:17], v[18:19] neg_lo:[0,1] neg_hi:[0,1]
	v_pk_mul_f32 v[30:31], v[14:15], s[12:13] op_sel_hi:[1,0]
	v_pk_fma_f32 v[0:1], v[24:25], 0.5, v[0:1] op_sel_hi:[1,0,1] neg_lo:[1,0,0] neg_hi:[1,0,0]
	v_pk_mul_f32 v[14:15], v[14:15], s[4:5] op_sel_hi:[1,0]
	v_pk_add_f32 v[4:5], v[4:5], v[16:17]
	v_pk_add_f32 v[16:17], v[8:9], v[10:11] op_sel:[0,1] op_sel_hi:[1,0] neg_lo:[0,1] neg_hi:[0,1]
	v_pk_add_f32 v[8:9], v[8:9], v[10:11] op_sel:[0,1] op_sel_hi:[1,0]
	v_pk_mul_f32 v[12:13], v[12:13], s[12:13] op_sel_hi:[1,0]
	v_pk_add_f32 v[10:11], v[0:1], v[14:15] op_sel:[0,1] op_sel_hi:[1,0]
	v_pk_add_f32 v[0:1], v[0:1], v[14:15] op_sel:[0,1] op_sel_hi:[1,0] neg_lo:[0,1] neg_hi:[0,1]
	v_pk_add_f32 v[4:5], v[4:5], v[18:19]
	v_pk_add_f32 v[8:9], v[8:9], v[30:31] op_sel:[0,1] op_sel_hi:[1,0]
	v_pk_add_f32 v[14:15], v[16:17], v[30:31] op_sel:[0,1] op_sel_hi:[1,0] neg_lo:[0,1] neg_hi:[0,1]
	v_pk_add_f32 v[20:21], v[20:21], v[22:23]
	v_pk_add_f32 v[0:1], v[0:1], v[12:13] op_sel:[0,1] op_sel_hi:[1,0]
	v_pk_add_f32 v[10:11], v[10:11], v[12:13] op_sel:[0,1] op_sel_hi:[1,0] neg_lo:[0,1] neg_hi:[0,1]
	ds_write_b64 v3, v[4:5]
	v_mov_b32_e32 v4, v14
	v_mov_b32_e32 v5, v9
	v_pk_add_f32 v[22:23], v[26:27], v[28:29]
	v_mov_b32_e32 v12, v10
	v_mov_b32_e32 v13, v1
	;; [unrolled: 1-line block ×4, first 2 shown]
	v_pk_fma_f32 v[4:5], v[20:21], s[2:3], v[4:5] op_sel_hi:[1,0,1]
	v_pk_fma_f32 v[10:11], v[22:23], s[2:3], v[12:13] op_sel_hi:[1,0,1]
	;; [unrolled: 1-line block ×4, first 2 shown]
	ds_write_b64 v3, v[4:5] offset:3200
	ds_write_b64 v3, v[10:11] offset:6400
	;; [unrolled: 1-line block ×4, first 2 shown]
	s_waitcnt lgkmcnt(0)
	s_barrier
	s_cbranch_vccz .LBB0_25
; %bb.19:
	s_andn2_b64 vcc, exec, s[0:1]
	s_cbranch_vccz .LBB0_29
.LBB0_20:
	s_endpgm
.LBB0_21:
	v_mov_b32_e32 v3, 0
	v_lshl_add_u64 v[20:21], s[26:27], 0, v[2:3]
	v_cmp_gt_u64_e32 vcc, s[24:25], v[20:21]
	s_and_b64 s[30:31], s[4:5], vcc
	s_and_saveexec_b64 s[4:5], s[30:31]
	s_cbranch_execz .LBB0_23
; %bb.22:
	s_waitcnt vmcnt(7)
	v_mad_u64_u32 v[4:5], s[30:31], s22, v2, 0
	s_waitcnt vmcnt(5)
	v_mov_b32_e32 v6, v5
	v_mad_u64_u32 v[6:7], s[22:23], s23, v2, v[6:7]
	v_mov_b32_e32 v5, v6
	v_mad_u64_u32 v[6:7], s[22:23], s20, v1, 0
	s_lshl_b64 s[18:19], s[18:19], 3
	v_mov_b32_e32 v8, v7
	s_add_u32 s12, s12, s18
	v_mad_u64_u32 v[8:9], s[22:23], s21, v1, v[8:9]
	s_addc_u32 s13, s13, s19
	v_mov_b32_e32 v7, v8
	v_lshl_add_u64 v[4:5], v[4:5], 3, s[12:13]
	v_add_u32_e32 v3, 25, v1
	v_lshl_add_u64 v[20:21], v[6:7], 3, v[4:5]
	v_mad_u64_u32 v[6:7], s[12:13], s20, v3, 0
	v_mov_b32_e32 v8, v7
	v_mad_u64_u32 v[8:9], s[12:13], s21, v3, v[8:9]
	v_mov_b32_e32 v7, v8
	v_add_u32_e32 v3, 50, v1
	v_lshl_add_u64 v[22:23], v[6:7], 3, v[4:5]
	v_mad_u64_u32 v[6:7], s[12:13], s20, v3, 0
	v_mov_b32_e32 v8, v7
	v_mad_u64_u32 v[8:9], s[12:13], s21, v3, v[8:9]
	v_mov_b32_e32 v7, v8
	;; [unrolled: 6-line block ×7, first 2 shown]
	v_lshl_add_u64 v[34:35], v[6:7], 3, v[4:5]
	global_load_dwordx2 v[4:5], v[20:21], off
	global_load_dwordx2 v[8:9], v[22:23], off
	;; [unrolled: 1-line block ×8, first 2 shown]
.LBB0_23:
	s_or_b64 exec, exec, s[4:5]
                                        ; implicit-def: $vgpr20
	s_and_saveexec_b64 s[4:5], s[2:3]
	s_xor_b64 s[2:3], exec, s[4:5]
	s_cbranch_execz .LBB0_16
.LBB0_24:
	v_mul_u32_u24_e32 v20, 0x50, v1
                                        ; implicit-def: $vgpr4_vgpr5
                                        ; implicit-def: $vgpr12_vgpr13
                                        ; implicit-def: $vgpr6_vgpr7
                                        ; implicit-def: $vgpr14_vgpr15
                                        ; implicit-def: $vgpr8_vgpr9
                                        ; implicit-def: $vgpr16_vgpr17
                                        ; implicit-def: $vgpr10_vgpr11
                                        ; implicit-def: $vgpr18_vgpr19
	s_or_saveexec_b64 s[2:3], s[2:3]
	v_lshlrev_b32_e32 v3, 3, v2
	s_xor_b64 exec, exec, s[2:3]
	s_cbranch_execnz .LBB0_17
	s_branch .LBB0_18
.LBB0_25:
	v_mov_b32_e32 v3, 0
	v_lshl_add_u64 v[0:1], s[26:27], 0, v[2:3]
	v_cmp_gt_u64_e32 vcc, s[24:25], v[0:1]
	s_and_saveexec_b64 s[0:1], vcc
	s_cbranch_execz .LBB0_28
; %bb.26:
	v_mad_u64_u32 v[4:5], s[2:3], s8, v6, 0
	v_mov_b32_e32 v8, v5
	v_mad_u64_u32 v[8:9], s[2:3], s9, v6, v[8:9]
	s_lshl_b64 s[2:3], s[6:7], 3
	s_add_u32 s2, s14, s2
	v_mov_b32_e32 v5, v8
	s_addc_u32 s3, s15, s3
	v_mul_u32_u24_e32 v3, 0x50, v6
	v_lshl_add_u64 v[4:5], v[4:5], 3, s[2:3]
	v_lshlrev_b32_e32 v7, 3, v2
	s_mov_b32 s3, 0
	v_add3_u32 v3, v3, v7, 0
	s_mov_b64 s[4:5], 0
	s_mov_b32 s2, s3
.LBB0_27:                               ; =>This Inner Loop Header: Depth=1
	v_add_u32_e32 v7, s2, v2
	ds_read_b64 v[8:9], v3
	s_add_i32 s2, s2, 2
	v_mad_u64_u32 v[10:11], s[12:13], s10, v7, 0
	v_lshl_add_u64 v[12:13], v[0:1], 0, s[2:3]
	v_mov_b32_e32 v14, v11
	v_cmp_le_u64_e32 vcc, s[24:25], v[12:13]
	v_mad_u64_u32 v[12:13], s[12:13], s11, v7, v[14:15]
	v_mov_b32_e32 v11, v12
	v_add_u32_e32 v3, 16, v3
	s_or_b64 s[4:5], vcc, s[4:5]
	v_lshl_add_u64 v[10:11], v[10:11], 3, v[4:5]
	s_waitcnt lgkmcnt(0)
	global_store_dwordx2 v[10:11], v[8:9], off
	s_andn2_b64 exec, exec, s[4:5]
	s_cbranch_execnz .LBB0_27
.LBB0_28:
	s_or_b64 exec, exec, s[0:1]
	s_cbranch_execnz .LBB0_20
.LBB0_29:
	v_mad_u64_u32 v[0:1], s[0:1], s8, v6, 0
	v_mov_b32_e32 v4, v1
	v_mad_u64_u32 v[4:5], s[0:1], s9, v6, v[4:5]
	v_mad_u64_u32 v[8:9], s[0:1], s10, v2, 0
	v_mov_b32_e32 v1, v4
	v_mov_b32_e32 v4, v9
	v_mad_u64_u32 v[4:5], s[0:1], s11, v2, v[4:5]
	v_mov_b32_e32 v9, v4
	v_mul_u32_u24_e32 v3, 0x50, v6
	v_lshlrev_b32_e32 v4, 3, v2
	v_add3_u32 v14, 0, v3, v4
	s_lshl_b64 s[0:1], s[6:7], 3
	ds_read2_b64 v[4:7], v14 offset1:2
	s_add_u32 s0, s14, s0
	s_addc_u32 s1, s15, s1
	v_lshl_add_u64 v[0:1], v[0:1], 3, s[0:1]
	v_lshl_add_u64 v[12:13], v[8:9], 3, v[0:1]
	v_add_u32_e32 v3, 2, v2
	s_waitcnt lgkmcnt(0)
	global_store_dwordx2 v[12:13], v[4:5], off
	v_mad_u64_u32 v[4:5], s[0:1], s10, v3, 0
	v_mov_b32_e32 v12, v5
	v_mad_u64_u32 v[12:13], s[0:1], s11, v3, v[12:13]
	v_mov_b32_e32 v5, v12
	v_lshl_add_u64 v[4:5], v[4:5], 3, v[0:1]
	v_or_b32_e32 v3, 4, v2
	ds_read2_b64 v[8:11], v14 offset0:4 offset1:6
	global_store_dwordx2 v[4:5], v[6:7], off
	v_mad_u64_u32 v[4:5], s[0:1], s10, v3, 0
	v_mov_b32_e32 v6, v5
	v_mad_u64_u32 v[6:7], s[0:1], s11, v3, v[6:7]
	v_mov_b32_e32 v5, v6
	v_lshl_add_u64 v[4:5], v[4:5], 3, v[0:1]
	v_add_u32_e32 v3, 6, v2
	s_waitcnt lgkmcnt(0)
	global_store_dwordx2 v[4:5], v[8:9], off
	v_mad_u64_u32 v[4:5], s[0:1], s10, v3, 0
	v_mov_b32_e32 v6, v5
	v_mad_u64_u32 v[6:7], s[0:1], s11, v3, v[6:7]
	v_mov_b32_e32 v5, v6
	v_lshl_add_u64 v[4:5], v[4:5], 3, v[0:1]
	global_store_dwordx2 v[4:5], v[10:11], off
	v_or_b32_e32 v5, 8, v2
	v_mad_u64_u32 v[2:3], s[0:1], s10, v5, 0
	ds_read_b64 v[6:7], v14 offset:64
	v_mov_b32_e32 v4, v3
	v_mad_u64_u32 v[4:5], s[0:1], s11, v5, v[4:5]
	v_mov_b32_e32 v3, v4
	v_lshl_add_u64 v[0:1], v[2:3], 3, v[0:1]
	s_waitcnt lgkmcnt(0)
	global_store_dwordx2 v[0:1], v[6:7], off
	s_endpgm
	.section	.rodata,"a",@progbits
	.p2align	6, 0x0
	.amdhsa_kernel fft_rtc_back_len200_factors_8_5_5_wgs_400_tpt_40_sp_op_CI_CI_sbcr_dirReg
		.amdhsa_group_segment_fixed_size 0
		.amdhsa_private_segment_fixed_size 0
		.amdhsa_kernarg_size 104
		.amdhsa_user_sgpr_count 2
		.amdhsa_user_sgpr_dispatch_ptr 0
		.amdhsa_user_sgpr_queue_ptr 0
		.amdhsa_user_sgpr_kernarg_segment_ptr 1
		.amdhsa_user_sgpr_dispatch_id 0
		.amdhsa_user_sgpr_kernarg_preload_length 0
		.amdhsa_user_sgpr_kernarg_preload_offset 0
		.amdhsa_user_sgpr_private_segment_size 0
		.amdhsa_uses_dynamic_stack 0
		.amdhsa_enable_private_segment 0
		.amdhsa_system_sgpr_workgroup_id_x 1
		.amdhsa_system_sgpr_workgroup_id_y 0
		.amdhsa_system_sgpr_workgroup_id_z 0
		.amdhsa_system_sgpr_workgroup_info 0
		.amdhsa_system_vgpr_workitem_id 0
		.amdhsa_next_free_vgpr 36
		.amdhsa_next_free_sgpr 55
		.amdhsa_accum_offset 36
		.amdhsa_reserve_vcc 1
		.amdhsa_float_round_mode_32 0
		.amdhsa_float_round_mode_16_64 0
		.amdhsa_float_denorm_mode_32 3
		.amdhsa_float_denorm_mode_16_64 3
		.amdhsa_dx10_clamp 1
		.amdhsa_ieee_mode 1
		.amdhsa_fp16_overflow 0
		.amdhsa_tg_split 0
		.amdhsa_exception_fp_ieee_invalid_op 0
		.amdhsa_exception_fp_denorm_src 0
		.amdhsa_exception_fp_ieee_div_zero 0
		.amdhsa_exception_fp_ieee_overflow 0
		.amdhsa_exception_fp_ieee_underflow 0
		.amdhsa_exception_fp_ieee_inexact 0
		.amdhsa_exception_int_div_zero 0
	.end_amdhsa_kernel
	.text
.Lfunc_end0:
	.size	fft_rtc_back_len200_factors_8_5_5_wgs_400_tpt_40_sp_op_CI_CI_sbcr_dirReg, .Lfunc_end0-fft_rtc_back_len200_factors_8_5_5_wgs_400_tpt_40_sp_op_CI_CI_sbcr_dirReg
                                        ; -- End function
	.section	.AMDGPU.csdata,"",@progbits
; Kernel info:
; codeLenInByte = 4776
; NumSgprs: 61
; NumVgprs: 36
; NumAgprs: 0
; TotalNumVgprs: 36
; ScratchSize: 0
; MemoryBound: 0
; FloatMode: 240
; IeeeMode: 1
; LDSByteSize: 0 bytes/workgroup (compile time only)
; SGPRBlocks: 7
; VGPRBlocks: 4
; NumSGPRsForWavesPerEU: 61
; NumVGPRsForWavesPerEU: 36
; AccumOffset: 36
; Occupancy: 7
; WaveLimiterHint : 1
; COMPUTE_PGM_RSRC2:SCRATCH_EN: 0
; COMPUTE_PGM_RSRC2:USER_SGPR: 2
; COMPUTE_PGM_RSRC2:TRAP_HANDLER: 0
; COMPUTE_PGM_RSRC2:TGID_X_EN: 1
; COMPUTE_PGM_RSRC2:TGID_Y_EN: 0
; COMPUTE_PGM_RSRC2:TGID_Z_EN: 0
; COMPUTE_PGM_RSRC2:TIDIG_COMP_CNT: 0
; COMPUTE_PGM_RSRC3_GFX90A:ACCUM_OFFSET: 8
; COMPUTE_PGM_RSRC3_GFX90A:TG_SPLIT: 0
	.text
	.p2alignl 6, 3212836864
	.fill 256, 4, 3212836864
	.type	__hip_cuid_d472541ae2a18ff3,@object ; @__hip_cuid_d472541ae2a18ff3
	.section	.bss,"aw",@nobits
	.globl	__hip_cuid_d472541ae2a18ff3
__hip_cuid_d472541ae2a18ff3:
	.byte	0                               ; 0x0
	.size	__hip_cuid_d472541ae2a18ff3, 1

	.ident	"AMD clang version 19.0.0git (https://github.com/RadeonOpenCompute/llvm-project roc-6.4.0 25133 c7fe45cf4b819c5991fe208aaa96edf142730f1d)"
	.section	".note.GNU-stack","",@progbits
	.addrsig
	.addrsig_sym __hip_cuid_d472541ae2a18ff3
	.amdgpu_metadata
---
amdhsa.kernels:
  - .agpr_count:     0
    .args:
      - .actual_access:  read_only
        .address_space:  global
        .offset:         0
        .size:           8
        .value_kind:     global_buffer
      - .offset:         8
        .size:           8
        .value_kind:     by_value
      - .actual_access:  read_only
        .address_space:  global
        .offset:         16
        .size:           8
        .value_kind:     global_buffer
      - .actual_access:  read_only
        .address_space:  global
        .offset:         24
        .size:           8
        .value_kind:     global_buffer
      - .actual_access:  read_only
        .address_space:  global
        .offset:         32
        .size:           8
        .value_kind:     global_buffer
      - .offset:         40
        .size:           8
        .value_kind:     by_value
      - .actual_access:  read_only
        .address_space:  global
        .offset:         48
        .size:           8
        .value_kind:     global_buffer
      - .actual_access:  read_only
        .address_space:  global
        .offset:         56
        .size:           8
        .value_kind:     global_buffer
      - .offset:         64
        .size:           4
        .value_kind:     by_value
      - .actual_access:  read_only
        .address_space:  global
        .offset:         72
        .size:           8
        .value_kind:     global_buffer
      - .actual_access:  read_only
        .address_space:  global
        .offset:         80
        .size:           8
        .value_kind:     global_buffer
      - .actual_access:  read_only
        .address_space:  global
        .offset:         88
        .size:           8
        .value_kind:     global_buffer
      - .actual_access:  write_only
        .address_space:  global
        .offset:         96
        .size:           8
        .value_kind:     global_buffer
    .group_segment_fixed_size: 0
    .kernarg_segment_align: 8
    .kernarg_segment_size: 104
    .language:       OpenCL C
    .language_version:
      - 2
      - 0
    .max_flat_workgroup_size: 400
    .name:           fft_rtc_back_len200_factors_8_5_5_wgs_400_tpt_40_sp_op_CI_CI_sbcr_dirReg
    .private_segment_fixed_size: 0
    .sgpr_count:     61
    .sgpr_spill_count: 0
    .symbol:         fft_rtc_back_len200_factors_8_5_5_wgs_400_tpt_40_sp_op_CI_CI_sbcr_dirReg.kd
    .uniform_work_group_size: 1
    .uses_dynamic_stack: false
    .vgpr_count:     36
    .vgpr_spill_count: 0
    .wavefront_size: 64
amdhsa.target:   amdgcn-amd-amdhsa--gfx950
amdhsa.version:
  - 1
  - 2
...

	.end_amdgpu_metadata
